;; amdgpu-corpus repo=ROCm/rocFFT kind=compiled arch=gfx1030 opt=O3
	.text
	.amdgcn_target "amdgcn-amd-amdhsa--gfx1030"
	.amdhsa_code_object_version 6
	.protected	bluestein_single_back_len396_dim1_dp_op_CI_CI ; -- Begin function bluestein_single_back_len396_dim1_dp_op_CI_CI
	.globl	bluestein_single_back_len396_dim1_dp_op_CI_CI
	.p2align	8
	.type	bluestein_single_back_len396_dim1_dp_op_CI_CI,@function
bluestein_single_back_len396_dim1_dp_op_CI_CI: ; @bluestein_single_back_len396_dim1_dp_op_CI_CI
; %bb.0:
	s_load_dwordx4 s[0:3], s[4:5], 0x28
	v_mul_u32_u24_e32 v1, 0x5d2, v0
	v_mov_b32_e32 v125, 0
	v_lshrrev_b32_e32 v1, 16, v1
	v_add_nc_u32_e32 v124, s6, v1
	s_waitcnt lgkmcnt(0)
	v_cmp_gt_u64_e32 vcc_lo, s[0:1], v[124:125]
	s_and_saveexec_b32 s0, vcc_lo
	s_cbranch_execz .LBB0_23
; %bb.1:
	s_clause 0x1
	s_load_dwordx2 s[14:15], s[4:5], 0x0
	s_load_dwordx2 s[12:13], s[4:5], 0x38
	v_mul_lo_u16 v1, v1, 44
	v_sub_nc_u16 v0, v0, v1
	v_and_b32_e32 v206, 0xffff, v0
	v_cmp_gt_u16_e32 vcc_lo, 36, v0
	v_lshlrev_b32_e32 v205, 4, v206
	s_and_saveexec_b32 s1, vcc_lo
	s_cbranch_execz .LBB0_3
; %bb.2:
	s_load_dwordx2 s[6:7], s[4:5], 0x18
	s_waitcnt lgkmcnt(0)
	v_add_co_u32 v22, s0, s14, v205
	v_add_co_ci_u32_e64 v23, null, s15, 0, s0
	v_add_co_u32 v28, s0, 0x800, v22
	v_add_co_ci_u32_e64 v29, s0, 0, v23, s0
	v_add_co_u32 v80, s0, 0x1000, v22
	v_add_co_ci_u32_e64 v81, s0, 0, v23, s0
	s_load_dwordx4 s[8:11], s[6:7], 0x0
	s_clause 0x1
	global_load_dwordx4 v[0:3], v205, s[14:15]
	global_load_dwordx4 v[4:7], v205, s[14:15] offset:576
	s_waitcnt lgkmcnt(0)
	v_mad_u64_u32 v[16:17], null, s10, v124, 0
	v_mad_u64_u32 v[18:19], null, s8, v206, 0
	s_mul_i32 s6, s9, 0x240
	s_mul_hi_u32 s7, s8, 0x240
	s_add_i32 s7, s7, s6
	v_mov_b32_e32 v8, v17
	v_mov_b32_e32 v9, v19
	v_mad_u64_u32 v[19:20], null, s11, v124, v[8:9]
	v_mad_u64_u32 v[20:21], null, s9, v206, v[9:10]
	s_clause 0x1
	global_load_dwordx4 v[8:11], v205, s[14:15] offset:1152
	global_load_dwordx4 v[12:15], v205, s[14:15] offset:1728
	v_mov_b32_e32 v17, v19
	v_mov_b32_e32 v19, v20
	v_lshlrev_b64 v[16:17], 4, v[16:17]
	v_lshlrev_b64 v[18:19], 4, v[18:19]
	v_add_co_u32 v16, s0, s2, v16
	v_add_co_ci_u32_e64 v17, s0, s3, v17, s0
	s_mul_i32 s2, s8, 0x240
	v_add_co_u32 v32, s0, v16, v18
	v_add_co_ci_u32_e64 v33, s0, v17, v19, s0
	s_clause 0x1
	global_load_dwordx4 v[16:19], v[28:29], off offset:256
	global_load_dwordx4 v[20:23], v[28:29], off offset:832
	v_add_co_u32 v36, s0, v32, s2
	v_add_co_ci_u32_e64 v37, s0, s7, v33, s0
	s_clause 0x1
	global_load_dwordx4 v[24:27], v[28:29], off offset:1408
	global_load_dwordx4 v[28:31], v[28:29], off offset:1984
	v_add_co_u32 v40, s0, v36, s2
	v_add_co_ci_u32_e64 v41, s0, s7, v37, s0
	s_clause 0x1
	global_load_dwordx4 v[32:35], v[32:33], off
	global_load_dwordx4 v[36:39], v[36:37], off
	v_add_co_u32 v44, s0, v40, s2
	v_add_co_ci_u32_e64 v45, s0, s7, v41, s0
	v_add_co_u32 v48, s0, v44, s2
	v_add_co_ci_u32_e64 v49, s0, s7, v45, s0
	s_clause 0x1
	global_load_dwordx4 v[40:43], v[40:41], off
	global_load_dwordx4 v[44:47], v[44:45], off
	v_add_co_u32 v52, s0, v48, s2
	v_add_co_ci_u32_e64 v53, s0, s7, v49, s0
	global_load_dwordx4 v[48:51], v[48:49], off
	v_add_co_u32 v56, s0, v52, s2
	v_add_co_ci_u32_e64 v57, s0, s7, v53, s0
	;; [unrolled: 3-line block ×6, first 2 shown]
	s_clause 0x1
	global_load_dwordx4 v[68:71], v[80:81], off offset:512
	global_load_dwordx4 v[72:75], v[80:81], off offset:1088
	global_load_dwordx4 v[76:79], v[76:77], off
	global_load_dwordx4 v[80:83], v[80:81], off offset:1664
	global_load_dwordx4 v[84:87], v[84:85], off
	s_waitcnt vmcnt(13)
	v_mul_f64 v[88:89], v[34:35], v[2:3]
	v_mul_f64 v[2:3], v[32:33], v[2:3]
	s_waitcnt vmcnt(12)
	v_mul_f64 v[90:91], v[38:39], v[6:7]
	v_mul_f64 v[6:7], v[36:37], v[6:7]
	;; [unrolled: 3-line block ×8, first 2 shown]
	v_fma_f64 v[30:31], v[32:33], v[0:1], v[88:89]
	v_fma_f64 v[32:33], v[34:35], v[0:1], -v[2:3]
	v_fma_f64 v[0:1], v[36:37], v[4:5], v[90:91]
	v_fma_f64 v[2:3], v[38:39], v[4:5], -v[6:7]
	s_waitcnt vmcnt(4)
	v_mul_f64 v[106:107], v[66:67], v[70:71]
	v_mul_f64 v[70:71], v[64:65], v[70:71]
	s_waitcnt vmcnt(2)
	v_mul_f64 v[108:109], v[78:79], v[74:75]
	v_mul_f64 v[74:75], v[76:77], v[74:75]
	;; [unrolled: 3-line block ×3, first 2 shown]
	v_fma_f64 v[4:5], v[40:41], v[8:9], v[92:93]
	v_fma_f64 v[6:7], v[42:43], v[8:9], -v[10:11]
	v_fma_f64 v[8:9], v[44:45], v[12:13], v[94:95]
	v_fma_f64 v[10:11], v[46:47], v[12:13], -v[14:15]
	;; [unrolled: 2-line block ×9, first 2 shown]
	ds_write_b128 v205, v[30:33]
	ds_write_b128 v205, v[0:3] offset:576
	ds_write_b128 v205, v[4:7] offset:1152
	;; [unrolled: 1-line block ×10, first 2 shown]
.LBB0_3:
	s_or_b32 exec_lo, exec_lo, s1
	s_clause 0x1
	s_load_dwordx2 s[0:1], s[4:5], 0x20
	s_load_dwordx2 s[2:3], s[4:5], 0x8
	s_waitcnt lgkmcnt(0)
	s_barrier
	buffer_gl0_inv
                                        ; implicit-def: $vgpr0_vgpr1
                                        ; implicit-def: $vgpr32_vgpr33
                                        ; implicit-def: $vgpr24_vgpr25
                                        ; implicit-def: $vgpr16_vgpr17
                                        ; implicit-def: $vgpr12_vgpr13
                                        ; implicit-def: $vgpr4_vgpr5
                                        ; implicit-def: $vgpr8_vgpr9
                                        ; implicit-def: $vgpr20_vgpr21
                                        ; implicit-def: $vgpr28_vgpr29
                                        ; implicit-def: $vgpr36_vgpr37
                                        ; implicit-def: $vgpr40_vgpr41
	s_and_saveexec_b32 s4, vcc_lo
	s_cbranch_execz .LBB0_5
; %bb.4:
	ds_read_b128 v[0:3], v205
	ds_read_b128 v[40:43], v205 offset:576
	ds_read_b128 v[36:39], v205 offset:1152
	ds_read_b128 v[32:35], v205 offset:1728
	ds_read_b128 v[24:27], v205 offset:2304
	ds_read_b128 v[28:31], v205 offset:2880
	ds_read_b128 v[20:23], v205 offset:3456
	ds_read_b128 v[16:19], v205 offset:4032
	ds_read_b128 v[12:15], v205 offset:4608
	ds_read_b128 v[8:11], v205 offset:5184
	ds_read_b128 v[4:7], v205 offset:5760
.LBB0_5:
	s_or_b32 exec_lo, exec_lo, s4
	s_waitcnt lgkmcnt(0)
	v_add_f64 v[120:121], v[42:43], -v[6:7]
	v_add_f64 v[48:49], v[40:41], -v[4:5]
	s_mov_b32 s4, 0xf8bb580b
	s_mov_b32 s6, 0x8eee2c13
	;; [unrolled: 1-line block ×4, first 2 shown]
	v_add_f64 v[46:47], v[4:5], v[40:41]
	v_add_f64 v[122:123], v[6:7], v[42:43]
	v_add_f64 v[108:109], v[38:39], -v[10:11]
	v_add_f64 v[44:45], v[36:37], -v[8:9]
	s_mov_b32 s10, 0x8764f0ba
	s_mov_b32 s16, 0xd9c712b6
	;; [unrolled: 1-line block ×6, first 2 shown]
	v_add_f64 v[110:111], v[8:9], v[36:37]
	v_add_f64 v[131:132], v[10:11], v[38:39]
	v_add_f64 v[114:115], v[34:35], -v[14:15]
	v_add_f64 v[86:87], v[32:33], -v[12:13]
	s_mov_b32 s20, 0x43842ef
	s_mov_b32 s8, 0x7f775887
	v_mul_f64 v[50:51], v[120:121], s[4:5]
	v_mul_f64 v[52:53], v[48:49], s[4:5]
	;; [unrolled: 1-line block ×4, first 2 shown]
	s_mov_b32 s34, 0xfd768dbf
	s_mov_b32 s21, 0xbfefac9e
	;; [unrolled: 1-line block ×4, first 2 shown]
	v_mul_f64 v[76:77], v[108:109], s[6:7]
	v_mul_f64 v[92:93], v[44:45], s[6:7]
	;; [unrolled: 1-line block ×4, first 2 shown]
	v_add_f64 v[94:95], v[32:33], v[12:13]
	v_add_f64 v[129:130], v[34:35], v[14:15]
	v_add_f64 v[62:63], v[26:27], -v[18:19]
	v_add_f64 v[54:55], v[24:25], -v[16:17]
	s_mov_b32 s24, 0x640f44db
	s_mov_b32 s22, 0x9bcd5057
	v_mul_f64 v[64:65], v[114:115], s[20:21]
	v_mul_f64 v[84:85], v[86:87], s[20:21]
	;; [unrolled: 1-line block ×4, first 2 shown]
	v_fma_f64 v[56:57], v[46:47], s[10:11], v[50:51]
	v_fma_f64 v[58:59], v[122:123], s[10:11], -v[52:53]
	v_fma_f64 v[60:61], v[46:47], s[16:17], v[125:126]
	v_fma_f64 v[68:69], v[122:123], s[16:17], -v[127:128]
	s_mov_b32 s25, 0xbfc2375f
	s_mov_b32 s23, 0xbfeeb42a
	;; [unrolled: 1-line block ×4, first 2 shown]
	v_fma_f64 v[70:71], v[110:111], s[16:17], v[76:77]
	v_fma_f64 v[72:73], v[131:132], s[16:17], -v[92:93]
	v_fma_f64 v[74:75], v[110:111], s[8:9], v[66:67]
	v_fma_f64 v[82:83], v[131:132], s[8:9], -v[118:119]
	v_add_f64 v[112:113], v[26:27], v[18:19]
	v_add_f64 v[80:81], v[30:31], -v[22:23]
	v_mul_f64 v[78:79], v[62:63], s[18:19]
	v_mul_f64 v[88:89], v[54:55], s[18:19]
	;; [unrolled: 1-line block ×4, first 2 shown]
	v_fma_f64 v[133:134], v[94:95], s[24:25], v[64:65]
	v_fma_f64 v[135:136], v[129:130], s[24:25], -v[84:85]
	v_fma_f64 v[137:138], v[94:95], s[22:23], v[100:101]
	v_fma_f64 v[139:140], v[129:130], s[22:23], -v[104:105]
	v_add_f64 v[90:91], v[0:1], v[56:57]
	v_add_f64 v[98:99], v[2:3], v[58:59]
	;; [unrolled: 1-line block ×5, first 2 shown]
	v_add_f64 v[56:57], v[28:29], -v[20:21]
	s_mov_b32 s31, 0xbfd207e7
	s_mov_b32 s27, 0x3fe14ced
	;; [unrolled: 1-line block ×4, first 2 shown]
	v_add_f64 v[116:117], v[22:23], v[30:31]
	v_mul_lo_u16 v207, v206, 11
	s_barrier
	buffer_gl0_inv
	v_fma_f64 v[143:144], v[112:113], s[8:9], -v[88:89]
	v_fma_f64 v[147:148], v[112:113], s[24:25], -v[106:107]
	v_add_f64 v[70:71], v[70:71], v[90:91]
	v_add_f64 v[72:73], v[72:73], v[98:99]
	;; [unrolled: 1-line block ×5, first 2 shown]
	v_mul_f64 v[82:83], v[80:81], s[30:31]
	v_mul_f64 v[90:91], v[56:57], s[30:31]
	;; [unrolled: 1-line block ×4, first 2 shown]
	v_fma_f64 v[141:142], v[58:59], s[8:9], v[78:79]
	v_fma_f64 v[145:146], v[58:59], s[24:25], v[96:97]
	v_add_f64 v[70:71], v[133:134], v[70:71]
	v_add_f64 v[72:73], v[135:136], v[72:73]
	;; [unrolled: 1-line block ×4, first 2 shown]
	v_fma_f64 v[133:134], v[60:61], s[22:23], v[82:83]
	v_fma_f64 v[135:136], v[116:117], s[22:23], -v[90:91]
	v_fma_f64 v[137:138], v[60:61], s[10:11], v[98:99]
	v_fma_f64 v[139:140], v[116:117], s[10:11], -v[102:103]
	v_add_f64 v[70:71], v[141:142], v[70:71]
	v_add_f64 v[141:142], v[143:144], v[72:73]
	;; [unrolled: 1-line block ×8, first 2 shown]
	s_and_saveexec_b32 s33, vcc_lo
	s_cbranch_execz .LBB0_7
; %bb.6:
	v_add_f64 v[42:43], v[2:3], v[42:43]
	v_add_f64 v[40:41], v[0:1], v[40:41]
	v_mul_f64 v[135:136], v[120:121], s[30:31]
	v_mul_f64 v[133:134], v[122:123], s[22:23]
	;; [unrolled: 1-line block ×5, first 2 shown]
	s_mov_b32 s37, 0x3fe82f19
	s_mov_b32 s36, s18
	v_mul_f64 v[139:140], v[122:123], s[24:25]
	v_mul_f64 v[143:144], v[122:123], s[16:17]
	;; [unrolled: 1-line block ×9, first 2 shown]
	s_mov_b32 s39, 0x3fed1bb4
	s_mov_b32 s38, s6
	v_mul_f64 v[149:150], v[131:132], s[8:9]
	v_mul_f64 v[157:158], v[131:132], s[22:23]
	v_add_f64 v[38:39], v[38:39], v[42:43]
	v_add_f64 v[36:37], v[36:37], v[40:41]
	v_fma_f64 v[181:182], v[46:47], s[22:23], v[135:136]
	v_mul_f64 v[42:43], v[114:115], s[18:19]
	v_fma_f64 v[179:180], v[48:49], s[34:35], v[133:134]
	v_fma_f64 v[133:134], v[48:49], s[30:31], v[133:134]
	v_fma_f64 v[135:136], v[46:47], s[22:23], -v[135:136]
	v_fma_f64 v[183:184], v[48:49], s[36:37], v[137:138]
	v_fma_f64 v[185:186], v[46:47], s[8:9], v[141:142]
	;; [unrolled: 1-line block ×4, first 2 shown]
	v_mul_f64 v[108:109], v[108:109], s[34:35]
	v_mul_f64 v[161:162], v[129:130], s[10:11]
	;; [unrolled: 1-line block ×5, first 2 shown]
	v_fma_f64 v[189:190], v[48:49], s[28:29], v[139:140]
	v_fma_f64 v[48:49], v[48:49], s[20:21], v[139:140]
	v_fma_f64 v[139:140], v[46:47], s[8:9], -v[141:142]
	v_fma_f64 v[141:142], v[44:45], s[4:5], v[151:152]
	v_fma_f64 v[151:152], v[44:45], s[26:27], v[151:152]
	;; [unrolled: 1-line block ×3, first 2 shown]
	v_add_f64 v[34:35], v[34:35], v[38:39]
	v_add_f64 v[32:33], v[32:33], v[36:37]
	;; [unrolled: 1-line block ×3, first 2 shown]
	v_fma_f64 v[153:154], v[110:111], s[10:11], -v[153:154]
	v_fma_f64 v[195:196], v[110:111], s[24:25], v[159:160]
	v_add_f64 v[133:134], v[2:3], v[133:134]
	v_add_f64 v[135:136], v[0:1], v[135:136]
	;; [unrolled: 1-line block ×5, first 2 shown]
	v_add_f64 v[50:51], v[147:148], -v[50:51]
	v_fma_f64 v[122:123], v[44:45], s[28:29], v[155:156]
	v_add_f64 v[137:138], v[2:3], v[137:138]
	v_mul_f64 v[175:176], v[110:111], s[8:9]
	v_mul_f64 v[40:41], v[129:130], s[8:9]
	v_add_f64 v[179:180], v[2:3], v[179:180]
	v_mul_f64 v[163:164], v[114:115], s[4:5]
	v_mul_f64 v[171:172], v[129:130], s[16:17]
	;; [unrolled: 1-line block ×5, first 2 shown]
	v_fma_f64 v[155:156], v[110:111], s[22:23], v[108:109]
	v_add_f64 v[26:27], v[26:27], v[34:35]
	v_add_f64 v[24:25], v[24:25], v[32:33]
	;; [unrolled: 1-line block ×3, first 2 shown]
	v_fma_f64 v[34:35], v[46:47], s[24:25], v[120:121]
	v_fma_f64 v[46:47], v[46:47], s[24:25], -v[120:121]
	v_add_f64 v[120:121], v[145:146], -v[125:126]
	v_fma_f64 v[127:128], v[94:95], s[8:9], v[42:43]
	v_add_f64 v[147:148], v[193:194], v[181:182]
	v_add_f64 v[133:134], v[151:152], v[133:134]
	;; [unrolled: 1-line block ×5, first 2 shown]
	v_fma_f64 v[183:184], v[58:59], s[16:17], v[187:188]
	v_fma_f64 v[185:186], v[58:59], s[16:17], -v[187:188]
	v_add_f64 v[139:140], v[0:1], v[139:140]
	v_add_f64 v[187:188], v[2:3], v[189:190]
	;; [unrolled: 1-line block ×3, first 2 shown]
	v_fma_f64 v[108:109], v[110:111], s[22:23], -v[108:109]
	v_add_f64 v[48:49], v[2:3], v[48:49]
	v_add_f64 v[92:93], v[92:93], v[131:132]
	v_add_f64 v[76:77], v[173:174], -v[76:77]
	v_mul_f64 v[129:130], v[94:95], s[22:23]
	v_add_f64 v[26:27], v[30:31], v[26:27]
	v_add_f64 v[24:25], v[28:29], v[24:25]
	v_fma_f64 v[28:29], v[44:45], s[30:31], v[157:158]
	v_fma_f64 v[30:31], v[110:111], s[24:25], -v[159:160]
	v_fma_f64 v[159:160], v[86:87], s[4:5], v[161:162]
	v_add_f64 v[34:35], v[0:1], v[34:35]
	v_add_f64 v[46:47], v[0:1], v[46:47]
	;; [unrolled: 1-line block ×7, first 2 shown]
	v_add_f64 v[66:67], v[175:176], -v[66:67]
	v_mul_f64 v[165:166], v[112:113], s[16:17]
	v_mul_f64 v[167:168], v[112:113], s[22:23]
	v_fma_f64 v[125:126], v[86:87], s[36:37], v[40:41]
	v_fma_f64 v[40:41], v[86:87], s[18:19], v[40:41]
	;; [unrolled: 1-line block ×3, first 2 shown]
	v_add_f64 v[141:142], v[141:142], v[179:180]
	v_fma_f64 v[42:43], v[94:95], s[8:9], -v[42:43]
	v_fma_f64 v[145:146], v[94:95], s[10:11], v[163:164]
	v_add_f64 v[104:105], v[104:105], v[177:178]
	v_add_f64 v[22:23], v[22:23], v[26:27]
	;; [unrolled: 1-line block ×3, first 2 shown]
	v_mul_f64 v[24:25], v[114:115], s[38:39]
	v_fma_f64 v[26:27], v[44:45], s[34:35], v[157:158]
	v_add_f64 v[44:45], v[118:119], v[149:150]
	v_add_f64 v[50:51], v[159:160], v[122:123]
	v_mul_f64 v[122:123], v[112:113], s[8:9]
	v_add_f64 v[114:115], v[183:184], v[127:128]
	v_fma_f64 v[127:128], v[94:95], s[10:11], -v[163:164]
	v_add_f64 v[38:39], v[84:85], v[38:39]
	v_add_f64 v[2:3], v[92:93], v[2:3]
	v_add_f64 v[36:37], v[36:37], -v[64:65]
	v_add_f64 v[0:1], v[76:77], v[0:1]
	v_add_f64 v[100:101], v[129:130], -v[100:101]
	v_add_f64 v[66:67], v[66:67], v[110:111]
	v_mul_f64 v[169:170], v[62:63], s[30:31]
	v_fma_f64 v[161:162], v[54:55], s[6:7], v[165:166]
	v_fma_f64 v[179:180], v[54:55], s[34:35], v[167:168]
	v_add_f64 v[125:126], v[125:126], v[141:142]
	v_add_f64 v[40:41], v[40:41], v[133:134]
	;; [unrolled: 1-line block ×6, first 2 shown]
	v_fma_f64 v[20:21], v[86:87], s[6:7], v[171:172]
	v_fma_f64 v[22:23], v[86:87], s[38:39], v[171:172]
	v_mul_f64 v[86:87], v[58:59], s[8:9]
	v_add_f64 v[26:27], v[26:27], v[48:49]
	v_fma_f64 v[131:132], v[94:95], s[16:17], v[24:25]
	v_fma_f64 v[24:25], v[94:95], s[16:17], -v[24:25]
	v_mul_f64 v[94:95], v[112:113], s[24:25]
	v_add_f64 v[32:33], v[44:45], v[32:33]
	v_mul_f64 v[112:113], v[112:113], s[10:11]
	v_mul_f64 v[44:45], v[58:59], s[24:25]
	;; [unrolled: 1-line block ×3, first 2 shown]
	v_add_f64 v[30:31], v[30:31], v[139:140]
	v_add_f64 v[28:29], v[28:29], v[187:188]
	v_add_f64 v[34:35], v[155:156], v[34:35]
	v_mul_f64 v[129:130], v[60:61], s[22:23]
	v_mul_f64 v[48:49], v[116:117], s[24:25]
	;; [unrolled: 1-line block ×6, first 2 shown]
	v_add_f64 v[14:15], v[14:15], v[18:19]
	v_add_f64 v[12:13], v[12:13], v[16:17]
	;; [unrolled: 1-line block ×4, first 2 shown]
	v_add_f64 v[38:39], v[86:87], -v[78:79]
	v_add_f64 v[22:23], v[22:23], v[26:27]
	v_add_f64 v[0:1], v[36:37], v[0:1]
	v_mul_f64 v[92:93], v[60:61], s[10:11]
	v_add_f64 v[26:27], v[106:107], v[94:95]
	v_add_f64 v[32:33], v[104:105], v[32:33]
	v_fma_f64 v[104:105], v[54:55], s[4:5], v[112:113]
	v_add_f64 v[44:45], v[44:45], -v[96:97]
	v_add_f64 v[16:17], v[100:101], v[66:67]
	v_add_f64 v[52:53], v[161:162], v[125:126]
	;; [unrolled: 1-line block ×3, first 2 shown]
	v_mul_f64 v[125:126], v[80:81], s[20:21]
	v_mul_f64 v[133:134], v[80:81], s[38:39]
	;; [unrolled: 1-line block ×3, first 2 shown]
	v_fma_f64 v[96:97], v[58:59], s[10:11], -v[62:63]
	v_add_f64 v[18:19], v[24:25], v[46:47]
	v_fma_f64 v[106:107], v[54:55], s[30:31], v[167:168]
	v_fma_f64 v[137:138], v[58:59], s[22:23], -v[169:170]
	v_add_f64 v[24:25], v[127:128], v[30:31]
	v_fma_f64 v[165:166], v[54:55], s[38:39], v[165:166]
	v_add_f64 v[42:43], v[42:43], v[135:136]
	v_fma_f64 v[181:182], v[58:59], s[22:23], v[169:170]
	v_add_f64 v[135:136], v[145:146], v[153:154]
	v_fma_f64 v[30:31], v[54:55], s[26:27], v[112:113]
	v_add_f64 v[20:21], v[20:21], v[28:29]
	v_fma_f64 v[28:29], v[58:59], s[10:11], v[62:63]
	v_add_f64 v[34:35], v[131:132], v[34:35]
	v_add_f64 v[78:79], v[129:130], -v[82:83]
	v_add_f64 v[82:83], v[10:11], v[14:15]
	v_add_f64 v[12:13], v[8:9], v[12:13]
	v_fma_f64 v[54:55], v[56:57], s[18:19], v[116:117]
	v_add_f64 v[22:23], v[104:105], v[22:23]
	v_add_f64 v[62:63], v[102:103], v[64:65]
	;; [unrolled: 1-line block ×6, first 2 shown]
	v_add_f64 v[32:33], v[92:93], -v[98:99]
	v_add_f64 v[16:17], v[44:45], v[16:17]
	v_fma_f64 v[58:59], v[60:61], s[8:9], -v[80:81]
	v_add_f64 v[44:45], v[96:97], v[18:19]
	v_fma_f64 v[36:37], v[56:57], s[38:39], v[108:109]
	v_add_f64 v[46:47], v[106:107], v[50:51]
	v_fma_f64 v[50:51], v[60:61], s[16:17], -v[133:134]
	v_add_f64 v[84:85], v[137:138], v[24:25]
	v_add_f64 v[40:41], v[165:166], v[40:41]
	;; [unrolled: 1-line block ×3, first 2 shown]
	v_fma_f64 v[76:77], v[56:57], s[28:29], v[48:49]
	v_fma_f64 v[110:111], v[60:61], s[24:25], v[125:126]
	;; [unrolled: 1-line block ×3, first 2 shown]
	v_fma_f64 v[125:126], v[60:61], s[24:25], -v[125:126]
	v_add_f64 v[120:121], v[181:182], v[135:136]
	v_fma_f64 v[135:136], v[56:57], s[6:7], v[108:109]
	v_fma_f64 v[94:95], v[60:61], s[16:17], v[133:134]
	;; [unrolled: 1-line block ×3, first 2 shown]
	v_add_f64 v[86:87], v[30:31], v[20:21]
	v_fma_f64 v[60:61], v[60:61], s[8:9], v[80:81]
	v_add_f64 v[80:81], v[28:29], v[34:35]
	v_add_f64 v[6:7], v[6:7], v[82:83]
	;; [unrolled: 1-line block ×11, first 2 shown]
	v_mov_b32_e32 v36, 4
	v_add_f64 v[2:3], v[76:77], v[52:53]
	v_add_f64 v[0:1], v[110:111], v[114:115]
	;; [unrolled: 1-line block ×4, first 2 shown]
	v_lshlrev_b32_sdwa v36, v36, v207 dst_sel:DWORD dst_unused:UNUSED_PAD src0_sel:DWORD src1_sel:WORD_0
	v_add_f64 v[30:31], v[135:136], v[118:119]
	v_add_f64 v[28:29], v[94:95], v[120:121]
	;; [unrolled: 1-line block ×4, first 2 shown]
	ds_write_b128 v36, v[4:7]
	ds_write_b128 v36, v[24:27] offset:16
	ds_write_b128 v36, v[20:23] offset:32
	;; [unrolled: 1-line block ×10, first 2 shown]
.LBB0_7:
	s_or_b32 exec_lo, exec_lo, s33
	v_and_b32_e32 v0, 0xff, v206
	s_load_dwordx4 s[4:7], s[0:1], 0x0
	s_waitcnt lgkmcnt(0)
	s_barrier
	buffer_gl0_inv
	v_mul_lo_u16 v0, 0x75, v0
	s_mov_b32 s8, 0x8c811c17
	s_mov_b32 s10, 0xa2cf5039
	;; [unrolled: 1-line block ×4, first 2 shown]
	v_lshrrev_b16 v0, 8, v0
	s_mov_b32 s9, 0x3fef838b
	s_mov_b32 s11, 0x3fe8836f
	;; [unrolled: 1-line block ×4, first 2 shown]
	v_sub_nc_u16 v1, v206, v0
	v_lshrrev_b16 v1, 1, v1
	v_and_b32_e32 v1, 0x7f, v1
	v_add_nc_u16 v0, v1, v0
	v_lshrrev_b16 v125, 3, v0
	v_mul_lo_u16 v0, v125, 11
	v_sub_nc_u16 v0, v206, v0
	v_and_b32_e32 v126, 0xff, v0
	v_lshlrev_b32_e32 v0, 7, v126
	s_clause 0x7
	global_load_dwordx4 v[8:11], v0, s[2:3]
	global_load_dwordx4 v[16:19], v0, s[2:3] offset:112
	global_load_dwordx4 v[12:15], v0, s[2:3] offset:48
	;; [unrolled: 1-line block ×7, first 2 shown]
	ds_read_b128 v[32:35], v205 offset:704
	ds_read_b128 v[36:39], v205 offset:5632
	;; [unrolled: 1-line block ×8, first 2 shown]
	s_waitcnt vmcnt(7) lgkmcnt(7)
	v_mul_f64 v[64:65], v[34:35], v[10:11]
	v_mul_f64 v[66:67], v[32:33], v[10:11]
	s_waitcnt vmcnt(6) lgkmcnt(6)
	v_mul_f64 v[76:77], v[38:39], v[18:19]
	v_mul_f64 v[78:79], v[36:37], v[18:19]
	;; [unrolled: 3-line block ×6, first 2 shown]
	v_fma_f64 v[64:65], v[32:33], v[8:9], -v[64:65]
	v_fma_f64 v[66:67], v[34:35], v[8:9], v[66:67]
	ds_read_b128 v[32:35], v205
	v_fma_f64 v[36:37], v[36:37], v[16:17], -v[76:77]
	v_fma_f64 v[38:39], v[38:39], v[16:17], v[78:79]
	v_fma_f64 v[40:41], v[40:41], v[12:13], -v[80:81]
	v_fma_f64 v[42:43], v[42:43], v[12:13], v[82:83]
	;; [unrolled: 2-line block ×5, first 2 shown]
	s_waitcnt vmcnt(1) lgkmcnt(2)
	v_mul_f64 v[76:77], v[58:59], v[6:7]
	v_mul_f64 v[78:79], v[56:57], v[6:7]
	s_waitcnt vmcnt(0) lgkmcnt(1)
	v_mul_f64 v[80:81], v[62:63], v[2:3]
	v_mul_f64 v[82:83], v[60:61], v[2:3]
	s_waitcnt lgkmcnt(0)
	s_barrier
	buffer_gl0_inv
	v_add_f64 v[84:85], v[64:65], -v[36:37]
	v_add_f64 v[86:87], v[66:67], -v[38:39]
	v_add_f64 v[36:37], v[64:65], v[36:37]
	v_add_f64 v[38:39], v[66:67], v[38:39]
	v_add_f64 v[64:65], v[40:41], v[44:45]
	v_add_f64 v[66:67], v[42:43], v[46:47]
	v_add_f64 v[88:89], v[40:41], -v[44:45]
	v_add_f64 v[90:91], v[42:43], -v[46:47]
	v_add_f64 v[92:93], v[48:49], v[52:53]
	v_add_f64 v[94:95], v[50:51], v[54:55]
	v_fma_f64 v[56:57], v[56:57], v[4:5], -v[76:77]
	v_fma_f64 v[58:59], v[58:59], v[4:5], v[78:79]
	v_fma_f64 v[60:61], v[60:61], v[0:1], -v[80:81]
	v_fma_f64 v[62:63], v[62:63], v[0:1], v[82:83]
	v_add_f64 v[48:49], v[48:49], -v[52:53]
	v_add_f64 v[50:51], v[50:51], -v[54:55]
	v_mul_f64 v[52:53], v[84:85], s[0:1]
	v_mul_f64 v[54:55], v[86:87], s[0:1]
	v_fma_f64 v[76:77], v[36:37], s[10:11], v[32:33]
	v_fma_f64 v[78:79], v[38:39], s[10:11], v[34:35]
	s_mov_b32 s1, 0xbfe491b7
	v_fma_f64 v[80:81], v[64:65], s[10:11], v[32:33]
	v_fma_f64 v[82:83], v[66:67], s[10:11], v[34:35]
	v_mul_f64 v[96:97], v[88:89], s[8:9]
	v_mul_f64 v[98:99], v[90:91], s[8:9]
	v_fma_f64 v[100:101], v[92:93], s[10:11], v[32:33]
	v_fma_f64 v[102:103], v[94:95], s[10:11], v[34:35]
	v_mul_f64 v[104:105], v[90:91], s[0:1]
	v_mul_f64 v[106:107], v[88:89], s[0:1]
	v_add_f64 v[108:109], v[56:57], v[60:61]
	v_add_f64 v[110:111], v[58:59], v[62:63]
	;; [unrolled: 1-line block ×4, first 2 shown]
	v_add_f64 v[56:57], v[56:57], -v[60:61]
	v_add_f64 v[58:59], v[58:59], -v[62:63]
	s_mov_b32 s10, 0xe8584cab
	s_mov_b32 s11, 0x3febb67a
	v_fma_f64 v[52:53], v[48:49], s[8:9], v[52:53]
	v_fma_f64 v[54:55], v[50:51], s[8:9], v[54:55]
	;; [unrolled: 1-line block ×6, first 2 shown]
	v_fma_f64 v[80:81], v[48:49], s[0:1], -v[96:97]
	v_fma_f64 v[82:83], v[50:51], s[0:1], -v[98:99]
	v_fma_f64 v[96:97], v[64:65], s[16:17], v[100:101]
	v_fma_f64 v[98:99], v[66:67], s[16:17], v[102:103]
	;; [unrolled: 1-line block ×4, first 2 shown]
	v_add_f64 v[104:105], v[88:89], v[84:85]
	v_add_f64 v[106:107], v[90:91], v[86:87]
	;; [unrolled: 1-line block ×8, first 2 shown]
	s_mov_b32 s1, 0xbfebb67a
	s_mov_b32 s0, s10
	v_fma_f64 v[52:53], v[56:57], s[10:11], v[52:53]
	v_fma_f64 v[54:55], v[58:59], s[10:11], v[54:55]
	v_fma_f64 v[60:61], v[108:109], -0.5, v[60:61]
	v_fma_f64 v[62:63], v[110:111], -0.5, v[62:63]
	;; [unrolled: 1-line block ×4, first 2 shown]
	v_fma_f64 v[80:81], v[56:57], s[10:11], v[80:81]
	v_fma_f64 v[82:83], v[58:59], s[10:11], v[82:83]
	v_fma_f64 v[96:97], v[108:109], -0.5, v[96:97]
	v_fma_f64 v[98:99], v[110:111], -0.5, v[98:99]
	v_fma_f64 v[58:59], v[58:59], s[0:1], v[100:101]
	v_fma_f64 v[56:57], v[56:57], s[0:1], v[102:103]
	s_mov_b32 s8, 0x748a0bf8
	s_mov_b32 s16, 0x42522d1b
	;; [unrolled: 1-line block ×4, first 2 shown]
	v_add_f64 v[40:41], v[40:41], v[112:113]
	v_add_f64 v[42:43], v[42:43], v[114:115]
	v_add_f64 v[100:101], v[104:105], -v[48:49]
	v_add_f64 v[102:103], v[106:107], -v[50:51]
	v_fma_f64 v[104:105], v[120:121], -0.5, v[116:117]
	v_fma_f64 v[106:107], v[122:123], -0.5, v[118:119]
	v_fma_f64 v[88:89], v[88:89], s[8:9], v[52:53]
	v_fma_f64 v[90:91], v[90:91], s[8:9], v[54:55]
	;; [unrolled: 1-line block ×12, first 2 shown]
	v_mov_b32_e32 v92, 0x63
                                        ; implicit-def: $vgpr112_vgpr113
	v_add_f64 v[84:85], v[44:45], v[40:41]
	v_add_f64 v[86:87], v[46:47], v[42:43]
	v_mul_f64 v[56:57], v[100:101], s[10:11]
	v_mul_f64 v[58:59], v[102:103], s[10:11]
	v_fma_f64 v[36:37], v[102:103], s[10:11], v[104:105]
	v_fma_f64 v[38:39], v[100:101], s[0:1], v[106:107]
	v_cmp_gt_u16_e64 s0, 11, v206
	v_add_f64 v[40:41], v[90:91], v[52:53]
	v_add_f64 v[42:43], v[54:55], -v[88:89]
	v_add_f64 v[44:45], v[66:67], v[76:77]
	v_add_f64 v[46:47], v[78:79], -v[64:65]
	;; [unrolled: 2-line block ×3, first 2 shown]
	v_add_f64 v[32:33], v[32:33], v[84:85]
	v_add_f64 v[34:35], v[34:35], v[86:87]
	v_fma_f64 v[52:53], v[58:59], -2.0, v[36:37]
	v_fma_f64 v[54:55], v[56:57], 2.0, v[38:39]
	v_fma_f64 v[76:77], v[90:91], -2.0, v[40:41]
	v_fma_f64 v[78:79], v[88:89], 2.0, v[42:43]
	;; [unrolled: 2-line block ×4, first 2 shown]
	v_mul_u32_u24_sdwa v64, v125, v92 dst_sel:DWORD dst_unused:UNUSED_PAD src0_sel:WORD_0 src1_sel:DWORD
	v_add_lshl_u32 v208, v64, v126, 4
	ds_write_b128 v208, v[36:39] offset:528
	ds_write_b128 v208, v[32:35]
	ds_write_b128 v208, v[40:43] offset:176
	ds_write_b128 v208, v[44:47] offset:704
	;; [unrolled: 1-line block ×7, first 2 shown]
	s_waitcnt lgkmcnt(0)
	s_barrier
	buffer_gl0_inv
	ds_read_b128 v[80:83], v205
	ds_read_b128 v[84:87], v205 offset:704
	ds_read_b128 v[100:103], v205 offset:1584
	;; [unrolled: 1-line block ×7, first 2 shown]
	s_and_saveexec_b32 s1, s0
	s_cbranch_execz .LBB0_9
; %bb.8:
	ds_read_b128 v[76:79], v205 offset:1408
	ds_read_b128 v[68:71], v205 offset:2992
	;; [unrolled: 1-line block ×4, first 2 shown]
.LBB0_9:
	s_or_b32 exec_lo, exec_lo, s1
	v_mad_u64_u32 v[32:33], null, v206, 48, s[2:3]
	v_add_nc_u32_e32 v34, 0x58, v206
	v_add_nc_u32_e32 v35, -11, v206
	s_clause 0x2
	global_load_dwordx4 v[44:47], v[32:33], off offset:1440
	global_load_dwordx4 v[48:51], v[32:33], off offset:1424
	;; [unrolled: 1-line block ×3, first 2 shown]
	v_cndmask_b32_e64 v36, v35, v34, s0
	v_add_co_u32 v34, s1, 0x800, v32
	v_add_co_ci_u32_e64 v35, s1, 0, v33, s1
	v_mul_i32_i24_e32 v37, 48, v36
	v_add_co_u32 v32, s1, 0xdc0, v32
	v_mul_hi_i32_i24_e32 v36, 48, v36
	v_add_co_ci_u32_e64 v33, s1, 0, v33, s1
	global_load_dwordx4 v[56:59], v[34:35], off offset:1472
	v_add_co_u32 v34, s1, s2, v37
	v_add_co_ci_u32_e64 v35, s1, s3, v36, s1
	s_clause 0x4
	global_load_dwordx4 v[64:67], v[32:33], off offset:16
	global_load_dwordx4 v[60:63], v[32:33], off offset:32
	;; [unrolled: 1-line block ×5, first 2 shown]
	s_waitcnt vmcnt(8) lgkmcnt(1)
	v_mul_f64 v[125:126], v[110:111], v[46:47]
	s_waitcnt vmcnt(7)
	v_mul_f64 v[120:121], v[106:107], v[50:51]
	s_waitcnt vmcnt(6)
	v_mul_f64 v[116:117], v[102:103], v[54:55]
	v_mul_f64 v[118:119], v[100:101], v[54:55]
	;; [unrolled: 1-line block ×4, first 2 shown]
	s_waitcnt vmcnt(5)
	v_mul_f64 v[129:130], v[90:91], v[58:59]
	v_mul_f64 v[131:132], v[88:89], v[58:59]
	s_waitcnt vmcnt(4)
	v_mul_f64 v[133:134], v[94:95], v[66:67]
	v_mul_f64 v[135:136], v[92:93], v[66:67]
	s_waitcnt vmcnt(3) lgkmcnt(0)
	v_mul_f64 v[137:138], v[98:99], v[62:63]
	v_mul_f64 v[139:140], v[96:97], v[62:63]
	s_waitcnt vmcnt(2)
	v_mul_f64 v[141:142], v[70:71], v[42:43]
	v_mul_f64 v[143:144], v[68:69], v[42:43]
	s_waitcnt vmcnt(1)
	;; [unrolled: 3-line block ×3, first 2 shown]
	v_mul_f64 v[149:150], v[114:115], v[34:35]
	v_mul_f64 v[151:152], v[112:113], v[34:35]
	v_fma_f64 v[100:101], v[100:101], v[52:53], -v[116:117]
	v_fma_f64 v[102:103], v[102:103], v[52:53], v[118:119]
	v_fma_f64 v[104:105], v[104:105], v[48:49], -v[120:121]
	v_fma_f64 v[106:107], v[106:107], v[48:49], v[122:123]
	v_fma_f64 v[108:109], v[108:109], v[44:45], -v[125:126]
	v_fma_f64 v[110:111], v[110:111], v[44:45], v[127:128]
	v_fma_f64 v[88:89], v[88:89], v[56:57], -v[129:130]
	v_fma_f64 v[90:91], v[90:91], v[56:57], v[131:132]
	v_fma_f64 v[92:93], v[92:93], v[64:65], -v[133:134]
	v_fma_f64 v[94:95], v[94:95], v[64:65], v[135:136]
	v_fma_f64 v[96:97], v[96:97], v[60:61], -v[137:138]
	v_fma_f64 v[98:99], v[98:99], v[60:61], v[139:140]
	v_fma_f64 v[68:69], v[68:69], v[40:41], -v[141:142]
	v_fma_f64 v[70:71], v[70:71], v[40:41], v[143:144]
	v_fma_f64 v[72:73], v[72:73], v[36:37], -v[145:146]
	v_fma_f64 v[74:75], v[74:75], v[36:37], v[147:148]
	v_fma_f64 v[112:113], v[112:113], v[32:33], -v[149:150]
	v_fma_f64 v[114:115], v[114:115], v[32:33], v[151:152]
	v_add_f64 v[104:105], v[80:81], -v[104:105]
	v_add_f64 v[106:107], v[82:83], -v[106:107]
	;; [unrolled: 1-line block ×12, first 2 shown]
	v_fma_f64 v[80:81], v[80:81], 2.0, -v[104:105]
	v_fma_f64 v[82:83], v[82:83], 2.0, -v[106:107]
	;; [unrolled: 1-line block ×4, first 2 shown]
	v_add_f64 v[108:109], v[104:105], -v[108:109]
	v_add_f64 v[110:111], v[106:107], v[116:117]
	v_fma_f64 v[112:113], v[84:85], 2.0, -v[125:126]
	v_fma_f64 v[114:115], v[86:87], 2.0, -v[127:128]
	;; [unrolled: 1-line block ×4, first 2 shown]
	v_add_f64 v[92:93], v[125:126], -v[92:93]
	v_add_f64 v[94:95], v[127:128], v[94:95]
	v_fma_f64 v[76:77], v[76:77], 2.0, -v[72:73]
	v_fma_f64 v[78:79], v[78:79], 2.0, -v[74:75]
	;; [unrolled: 1-line block ×4, first 2 shown]
	v_add_f64 v[68:69], v[72:73], -v[98:99]
	v_add_f64 v[116:117], v[80:81], -v[100:101]
	;; [unrolled: 1-line block ×3, first 2 shown]
	v_fma_f64 v[120:121], v[104:105], 2.0, -v[108:109]
	v_fma_f64 v[122:123], v[106:107], 2.0, -v[110:111]
	v_add_f64 v[100:101], v[112:113], -v[84:85]
	v_add_f64 v[102:103], v[114:115], -v[86:87]
	v_fma_f64 v[104:105], v[125:126], 2.0, -v[92:93]
	v_fma_f64 v[106:107], v[127:128], 2.0, -v[94:95]
	v_add_f64 v[84:85], v[76:77], -v[88:89]
	v_add_f64 v[86:87], v[78:79], -v[70:71]
	v_add_f64 v[70:71], v[74:75], v[96:97]
	v_fma_f64 v[88:89], v[72:73], 2.0, -v[68:69]
	v_fma_f64 v[80:81], v[80:81], 2.0, -v[116:117]
	;; [unrolled: 1-line block ×5, first 2 shown]
	ds_write_b128 v205, v[80:83]
	ds_write_b128 v205, v[120:123] offset:1584
	ds_write_b128 v205, v[116:119] offset:3168
	;; [unrolled: 1-line block ×7, first 2 shown]
	v_fma_f64 v[96:97], v[76:77], 2.0, -v[84:85]
	v_fma_f64 v[98:99], v[78:79], 2.0, -v[86:87]
	;; [unrolled: 1-line block ×3, first 2 shown]
	s_and_saveexec_b32 s1, s0
	s_cbranch_execz .LBB0_11
; %bb.10:
	ds_write_b128 v205, v[96:99] offset:1408
	ds_write_b128 v205, v[88:91] offset:2992
	;; [unrolled: 1-line block ×4, first 2 shown]
.LBB0_11:
	s_or_b32 exec_lo, exec_lo, s1
	s_waitcnt lgkmcnt(0)
	s_barrier
	buffer_gl0_inv
	s_and_saveexec_b32 s2, vcc_lo
	s_cbranch_execz .LBB0_13
; %bb.12:
	v_add_co_u32 v137, s1, s14, v205
	v_add_co_ci_u32_e64 v138, null, s15, 0, s1
	v_add_co_u32 v72, s1, 0x1800, v137
	v_add_co_ci_u32_e64 v73, s1, 0, v138, s1
	v_add_co_u32 v129, s1, 0x18c0, v137
	v_add_co_ci_u32_e64 v130, s1, 0, v138, s1
	global_load_dwordx4 v[72:75], v[72:73], off offset:192
	v_add_co_u32 v141, s1, 0x2000, v137
	v_add_co_ci_u32_e64 v142, s1, 0, v138, s1
	s_clause 0x3
	global_load_dwordx4 v[76:79], v[129:130], off offset:576
	global_load_dwordx4 v[125:128], v[129:130], off offset:1152
	;; [unrolled: 1-line block ×4, first 2 shown]
	v_add_co_u32 v157, s1, 0x2800, v137
	v_add_co_ci_u32_e64 v158, s1, 0, v138, s1
	s_clause 0x5
	global_load_dwordx4 v[137:140], v[141:142], off offset:1024
	global_load_dwordx4 v[141:144], v[141:142], off offset:1600
	;; [unrolled: 1-line block ×6, first 2 shown]
	ds_read_b128 v[161:164], v205
	ds_read_b128 v[165:168], v205 offset:576
	ds_read_b128 v[169:172], v205 offset:1152
	;; [unrolled: 1-line block ×10, first 2 shown]
	s_waitcnt vmcnt(10) lgkmcnt(10)
	v_mul_f64 v[209:210], v[163:164], v[74:75]
	v_mul_f64 v[74:75], v[161:162], v[74:75]
	s_waitcnt vmcnt(9) lgkmcnt(9)
	v_mul_f64 v[211:212], v[167:168], v[78:79]
	v_mul_f64 v[78:79], v[165:166], v[78:79]
	;; [unrolled: 3-line block ×11, first 2 shown]
	v_fma_f64 v[159:160], v[161:162], v[72:73], -v[209:210]
	v_fma_f64 v[161:162], v[163:164], v[72:73], v[74:75]
	v_fma_f64 v[72:73], v[165:166], v[76:77], -v[211:212]
	v_fma_f64 v[74:75], v[167:168], v[76:77], v[78:79]
	;; [unrolled: 2-line block ×11, first 2 shown]
	ds_write_b128 v205, v[159:162]
	ds_write_b128 v205, v[72:75] offset:576
	ds_write_b128 v205, v[76:79] offset:1152
	;; [unrolled: 1-line block ×10, first 2 shown]
.LBB0_13:
	s_or_b32 exec_lo, exec_lo, s2
	s_waitcnt lgkmcnt(0)
	s_barrier
	buffer_gl0_inv
	s_and_saveexec_b32 s1, vcc_lo
	s_cbranch_execz .LBB0_15
; %bb.14:
	ds_read_b128 v[80:83], v205
	ds_read_b128 v[120:123], v205 offset:576
	ds_read_b128 v[116:119], v205 offset:1152
	;; [unrolled: 1-line block ×10, first 2 shown]
.LBB0_15:
	s_or_b32 exec_lo, exec_lo, s1
	s_waitcnt lgkmcnt(0)
	v_add_f64 v[163:164], v[122:123], -v[86:87]
	v_add_f64 v[165:166], v[86:87], v[122:123]
	s_mov_b32 s2, 0x8764f0ba
	s_mov_b32 s10, 0xf8bb580b
	;; [unrolled: 1-line block ×8, first 2 shown]
	v_add_f64 v[161:162], v[84:85], v[120:121]
	v_add_f64 v[169:170], v[120:121], -v[84:85]
	v_add_f64 v[125:126], v[118:119], -v[90:91]
	v_add_f64 v[127:128], v[90:91], v[118:119]
	s_mov_b32 s18, 0x7f775887
	s_mov_b32 s24, 0xbb3a28a1
	;; [unrolled: 1-line block ×4, first 2 shown]
	v_add_f64 v[129:130], v[88:89], v[116:117]
	v_add_f64 v[139:140], v[116:117], -v[88:89]
	v_add_f64 v[135:136], v[110:111], -v[98:99]
	v_add_f64 v[133:134], v[110:111], v[98:99]
	v_mul_f64 v[181:182], v[163:164], s[10:11]
	v_mul_f64 v[187:188], v[165:166], s[2:3]
	;; [unrolled: 1-line block ×4, first 2 shown]
	s_mov_b32 s22, 0x640f44db
	s_mov_b32 s34, 0x43842ef
	;; [unrolled: 1-line block ×8, first 2 shown]
	v_mul_f64 v[167:168], v[125:126], s[16:17]
	v_mul_f64 v[171:172], v[127:128], s[8:9]
	;; [unrolled: 1-line block ×4, first 2 shown]
	v_add_f64 v[131:132], v[108:109], v[96:97]
	v_add_f64 v[137:138], v[108:109], -v[96:97]
	v_add_f64 v[141:142], v[114:115], v[94:95]
	v_add_f64 v[145:146], v[114:115], -v[94:95]
	v_mul_f64 v[177:178], v[135:136], s[34:35]
	v_mul_f64 v[179:180], v[133:134], s[22:23]
	v_fma_f64 v[72:73], v[161:162], s[2:3], -v[181:182]
	v_fma_f64 v[74:75], v[169:170], s[10:11], v[187:188]
	v_fma_f64 v[76:77], v[161:162], s[8:9], -v[183:184]
	v_fma_f64 v[78:79], v[169:170], s[16:17], v[191:192]
	v_mul_f64 v[173:174], v[135:136], s[28:29]
	v_mul_f64 v[175:176], v[133:134], s[20:21]
	s_mov_b32 s27, 0x3fefac9e
	s_mov_b32 s26, s34
	v_add_f64 v[143:144], v[112:113], v[92:93]
	v_add_f64 v[151:152], v[112:113], -v[92:93]
	v_add_f64 v[147:148], v[102:103], v[106:107]
	v_add_f64 v[149:150], v[106:107], -v[102:103]
	v_fma_f64 v[153:154], v[129:130], s[8:9], -v[167:168]
	v_fma_f64 v[155:156], v[139:140], s[16:17], v[171:172]
	v_fma_f64 v[193:194], v[129:130], s[18:19], -v[157:158]
	v_fma_f64 v[197:198], v[139:140], s[24:25], v[159:160]
	s_mov_b32 s37, 0x3fe14ced
	s_mov_b32 s30, s28
	v_mul_f64 v[199:200], v[141:142], s[18:19]
	v_mul_f64 v[195:196], v[145:146], s[24:25]
	v_mul_f64 v[185:186], v[145:146], s[26:27]
	v_mul_f64 v[189:190], v[141:142], s[22:23]
	v_add_f64 v[72:73], v[80:81], v[72:73]
	v_add_f64 v[74:75], v[82:83], v[74:75]
	;; [unrolled: 1-line block ×4, first 2 shown]
	v_fma_f64 v[209:210], v[131:132], s[22:23], -v[177:178]
	v_fma_f64 v[211:212], v[137:138], s[34:35], v[179:180]
	v_fma_f64 v[213:214], v[131:132], s[20:21], -v[173:174]
	v_fma_f64 v[215:216], v[137:138], s[28:29], v[175:176]
	s_mov_b32 s36, s10
	v_mul_f64 v[203:204], v[147:148], s[20:21]
	v_mul_f64 v[201:202], v[149:150], s[30:31]
	s_barrier
	buffer_gl0_inv
	v_fma_f64 v[219:220], v[151:152], s[24:25], v[199:200]
	v_fma_f64 v[217:218], v[143:144], s[18:19], -v[195:196]
	v_fma_f64 v[221:222], v[143:144], s[22:23], -v[185:186]
	v_fma_f64 v[223:224], v[151:152], s[26:27], v[189:190]
	v_add_f64 v[72:73], v[153:154], v[72:73]
	v_add_f64 v[74:75], v[155:156], v[74:75]
	;; [unrolled: 1-line block ×5, first 2 shown]
	v_add_f64 v[155:156], v[104:105], -v[100:101]
	v_mul_f64 v[193:194], v[149:150], s[36:37]
	v_mul_f64 v[197:198], v[147:148], s[2:3]
	v_add_f64 v[72:73], v[209:210], v[72:73]
	v_add_f64 v[74:75], v[211:212], v[74:75]
	;; [unrolled: 1-line block ×4, first 2 shown]
	v_fma_f64 v[209:210], v[153:154], s[20:21], -v[201:202]
	v_fma_f64 v[211:212], v[155:156], s[30:31], v[203:204]
	v_fma_f64 v[213:214], v[153:154], s[2:3], -v[193:194]
	v_fma_f64 v[215:216], v[155:156], s[36:37], v[197:198]
	v_add_f64 v[72:73], v[217:218], v[72:73]
	v_add_f64 v[74:75], v[219:220], v[74:75]
	v_add_f64 v[217:218], v[221:222], v[76:77]
	v_add_f64 v[219:220], v[223:224], v[78:79]
	v_add_f64 v[76:77], v[209:210], v[72:73]
	v_add_f64 v[78:79], v[211:212], v[74:75]
	v_add_f64 v[72:73], v[213:214], v[217:218]
	v_add_f64 v[74:75], v[215:216], v[219:220]
	s_and_saveexec_b32 s1, vcc_lo
	s_cbranch_execz .LBB0_17
; %bb.16:
	v_add_f64 v[120:121], v[80:81], v[120:121]
	v_add_f64 v[122:123], v[82:83], v[122:123]
	;; [unrolled: 1-line block ×8, first 2 shown]
	v_mul_f64 v[112:113], v[163:164], s[34:35]
	v_add_f64 v[104:105], v[104:105], v[108:109]
	v_add_f64 v[106:107], v[106:107], v[110:111]
	v_mul_f64 v[108:109], v[163:164], s[30:31]
	v_mul_f64 v[110:111], v[163:164], s[24:25]
	v_fma_f64 v[118:119], v[161:162], s[22:23], v[112:113]
	v_fma_f64 v[112:113], v[161:162], s[22:23], -v[112:113]
	v_add_f64 v[100:101], v[100:101], v[104:105]
	v_add_f64 v[102:103], v[102:103], v[106:107]
	v_fma_f64 v[114:115], v[161:162], s[20:21], -v[108:109]
	v_fma_f64 v[108:109], v[161:162], s[20:21], v[108:109]
	v_fma_f64 v[116:117], v[161:162], s[18:19], -v[110:111]
	v_fma_f64 v[110:111], v[161:162], s[18:19], v[110:111]
	v_add_f64 v[118:119], v[80:81], v[118:119]
	v_add_f64 v[112:113], v[80:81], v[112:113]
	;; [unrolled: 1-line block ×4, first 2 shown]
	v_mul_f64 v[100:101], v[169:170], s[34:35]
	v_add_f64 v[114:115], v[80:81], v[114:115]
	v_add_f64 v[108:109], v[80:81], v[108:109]
	;; [unrolled: 1-line block ×6, first 2 shown]
	v_mul_f64 v[98:99], v[169:170], s[24:25]
	v_mul_f64 v[96:97], v[169:170], s[30:31]
	v_fma_f64 v[106:107], v[165:166], s[22:23], -v[100:101]
	v_fma_f64 v[100:101], v[165:166], s[22:23], v[100:101]
	v_add_f64 v[88:89], v[88:89], v[92:93]
	v_add_f64 v[90:91], v[90:91], v[94:95]
	v_mul_f64 v[92:93], v[161:162], s[2:3]
	v_mul_f64 v[94:95], v[161:162], s[8:9]
	v_fma_f64 v[104:105], v[165:166], s[18:19], v[98:99]
	v_fma_f64 v[98:99], v[165:166], s[18:19], -v[98:99]
	v_fma_f64 v[102:103], v[165:166], s[20:21], v[96:97]
	v_fma_f64 v[96:97], v[165:166], s[20:21], -v[96:97]
	v_add_f64 v[163:164], v[82:83], v[100:101]
	v_add_f64 v[106:107], v[82:83], v[106:107]
	;; [unrolled: 1-line block ×3, first 2 shown]
	v_mul_f64 v[88:89], v[169:170], s[16:17]
	v_add_f64 v[86:87], v[86:87], v[90:91]
	v_mul_f64 v[90:91], v[169:170], s[10:11]
	v_add_f64 v[92:93], v[92:93], v[181:182]
	v_add_f64 v[94:95], v[94:95], v[183:184]
	;; [unrolled: 1-line block ×6, first 2 shown]
	v_mul_f64 v[181:182], v[155:156], s[34:35]
	v_mul_f64 v[183:184], v[149:150], s[34:35]
	v_add_f64 v[88:89], v[191:192], -v[88:89]
	v_add_f64 v[90:91], v[187:188], -v[90:91]
	v_add_f64 v[92:93], v[80:81], v[92:93]
	v_add_f64 v[161:162], v[80:81], v[94:95]
	v_mul_f64 v[94:95], v[137:138], s[24:25]
	v_add_f64 v[98:99], v[82:83], v[88:89]
	v_mul_f64 v[88:89], v[139:140], s[36:37]
	;; [unrolled: 2-line block ×3, first 2 shown]
	v_fma_f64 v[100:101], v[133:134], s[18:19], v[94:95]
	v_fma_f64 v[94:95], v[133:134], s[18:19], -v[94:95]
	v_fma_f64 v[80:81], v[127:128], s[2:3], v[88:89]
	v_fma_f64 v[88:89], v[127:128], s[2:3], -v[88:89]
	v_fma_f64 v[82:83], v[129:130], s[2:3], -v[90:91]
	v_fma_f64 v[90:91], v[129:130], s[2:3], v[90:91]
	v_add_f64 v[80:81], v[80:81], v[102:103]
	v_add_f64 v[88:89], v[88:89], v[96:97]
	;; [unrolled: 1-line block ×4, first 2 shown]
	v_fma_f64 v[96:97], v[153:154], s[22:23], v[183:184]
	v_mul_f64 v[108:109], v[151:152], s[24:25]
	v_add_f64 v[80:81], v[100:101], v[80:81]
	v_mul_f64 v[100:101], v[135:136], s[24:25]
	v_add_f64 v[88:89], v[94:95], v[88:89]
	v_add_f64 v[108:109], v[199:200], -v[108:109]
	v_fma_f64 v[102:103], v[131:132], s[18:19], -v[100:101]
	v_fma_f64 v[94:95], v[131:132], s[18:19], v[100:101]
	v_mul_f64 v[100:101], v[137:138], s[34:35]
	v_add_f64 v[82:83], v[102:103], v[82:83]
	v_mul_f64 v[102:103], v[139:140], s[16:17]
	s_mov_b32 s17, 0x3fed1bb4
	v_add_f64 v[90:91], v[94:95], v[90:91]
	v_mul_f64 v[114:115], v[151:152], s[16:17]
	v_add_f64 v[100:101], v[179:180], -v[100:101]
	v_fma_f64 v[165:166], v[141:142], s[8:9], v[114:115]
	v_fma_f64 v[94:95], v[141:142], s[8:9], -v[114:115]
	v_mul_f64 v[114:115], v[143:144], s[18:19]
	v_add_f64 v[80:81], v[165:166], v[80:81]
	v_mul_f64 v[165:166], v[145:146], s[16:17]
	v_add_f64 v[88:89], v[94:95], v[88:89]
	v_add_f64 v[114:115], v[114:115], v[195:196]
	v_fma_f64 v[94:95], v[143:144], s[8:9], v[165:166]
	v_fma_f64 v[169:170], v[143:144], s[8:9], -v[165:166]
	v_mul_f64 v[165:166], v[149:150], s[24:25]
	v_add_f64 v[94:95], v[94:95], v[90:91]
	v_fma_f64 v[90:91], v[147:148], s[22:23], -v[181:182]
	v_add_f64 v[169:170], v[169:170], v[82:83]
	v_fma_f64 v[82:83], v[147:148], s[22:23], v[181:182]
	v_add_f64 v[90:91], v[90:91], v[88:89]
	v_add_f64 v[88:89], v[96:97], v[94:95]
	v_mul_f64 v[96:97], v[129:130], s[8:9]
	v_add_f64 v[94:95], v[171:172], -v[102:103]
	v_mul_f64 v[102:103], v[131:132], s[22:23]
	v_add_f64 v[82:83], v[82:83], v[80:81]
	v_fma_f64 v[80:81], v[153:154], s[22:23], -v[183:184]
	v_add_f64 v[96:97], v[96:97], v[167:168]
	v_add_f64 v[94:95], v[94:95], v[122:123]
	;; [unrolled: 1-line block ×3, first 2 shown]
	v_mul_f64 v[122:123], v[143:144], s[22:23]
	v_add_f64 v[80:81], v[80:81], v[169:170]
	v_add_f64 v[92:93], v[96:97], v[92:93]
	v_mul_f64 v[96:97], v[155:156], s[30:31]
	v_add_f64 v[94:95], v[100:101], v[94:95]
	v_mul_f64 v[100:101], v[153:154], s[20:21]
	v_add_f64 v[122:123], v[122:123], v[185:186]
	v_add_f64 v[92:93], v[102:103], v[92:93]
	v_add_f64 v[96:97], v[203:204], -v[96:97]
	v_add_f64 v[94:95], v[108:109], v[94:95]
	v_add_f64 v[100:101], v[100:101], v[201:202]
	v_mul_f64 v[102:103], v[137:138], s[28:29]
	v_mul_f64 v[108:109], v[131:132], s[20:21]
	v_add_f64 v[92:93], v[114:115], v[92:93]
	v_mul_f64 v[114:115], v[151:152], s[26:27]
	v_add_f64 v[94:95], v[96:97], v[94:95]
	v_mul_f64 v[96:97], v[139:140], s[24:25]
	v_add_f64 v[102:103], v[175:176], -v[102:103]
	v_add_f64 v[108:109], v[108:109], v[173:174]
	v_add_f64 v[92:93], v[100:101], v[92:93]
	v_mul_f64 v[100:101], v[129:130], s[18:19]
	v_add_f64 v[114:115], v[189:190], -v[114:115]
	v_add_f64 v[96:97], v[159:160], -v[96:97]
	v_add_f64 v[100:101], v[100:101], v[157:158]
	v_add_f64 v[96:97], v[96:97], v[98:99]
	;; [unrolled: 1-line block ×3, first 2 shown]
	v_mul_f64 v[100:101], v[155:156], s[36:37]
	v_add_f64 v[96:97], v[102:103], v[96:97]
	v_mul_f64 v[102:103], v[153:154], s[2:3]
	v_mul_f64 v[161:162], v[155:156], s[24:25]
	v_add_f64 v[98:99], v[108:109], v[98:99]
	v_add_f64 v[100:101], v[197:198], -v[100:101]
	v_add_f64 v[96:97], v[114:115], v[96:97]
	v_add_f64 v[102:103], v[102:103], v[193:194]
	v_mul_f64 v[114:115], v[137:138], s[16:17]
	v_add_f64 v[108:109], v[122:123], v[98:99]
	v_add_f64 v[98:99], v[100:101], v[96:97]
	;; [unrolled: 1-line block ×3, first 2 shown]
	v_mul_f64 v[108:109], v[139:140], s[28:29]
	v_mul_f64 v[139:140], v[139:140], s[26:27]
	v_fma_f64 v[100:101], v[127:128], s[20:21], -v[108:109]
	v_fma_f64 v[108:109], v[127:128], s[20:21], v[108:109]
	v_add_f64 v[100:101], v[100:101], v[106:107]
	v_mul_f64 v[106:107], v[125:126], s[28:29]
	v_mul_f64 v[125:126], v[125:126], s[26:27]
	v_add_f64 v[108:109], v[108:109], v[163:164]
	v_fma_f64 v[102:103], v[129:130], s[20:21], v[106:107]
	v_fma_f64 v[106:107], v[129:130], s[20:21], -v[106:107]
	v_add_f64 v[102:103], v[102:103], v[118:119]
	v_fma_f64 v[118:119], v[133:134], s[8:9], -v[114:115]
	v_fma_f64 v[114:115], v[133:134], s[8:9], v[114:115]
	v_add_f64 v[106:107], v[106:107], v[112:113]
	v_add_f64 v[100:101], v[118:119], v[100:101]
	v_mul_f64 v[118:119], v[135:136], s[16:17]
	v_add_f64 v[108:109], v[114:115], v[108:109]
	v_fma_f64 v[122:123], v[131:132], s[8:9], v[118:119]
	v_fma_f64 v[118:119], v[131:132], s[8:9], -v[118:119]
	v_add_f64 v[102:103], v[122:123], v[102:103]
	v_mul_f64 v[122:123], v[151:152], s[10:11]
	v_add_f64 v[106:107], v[118:119], v[106:107]
	v_fma_f64 v[157:158], v[141:142], s[2:3], -v[122:123]
	v_fma_f64 v[122:123], v[141:142], s[2:3], v[122:123]
	v_add_f64 v[100:101], v[157:158], v[100:101]
	v_mul_f64 v[157:158], v[145:146], s[10:11]
	v_add_f64 v[122:123], v[122:123], v[108:109]
	v_fma_f64 v[159:160], v[143:144], s[2:3], v[157:158]
	v_add_f64 v[159:160], v[159:160], v[102:103]
	v_fma_f64 v[102:103], v[147:148], s[18:19], -v[161:162]
	v_add_f64 v[102:103], v[102:103], v[100:101]
	v_fma_f64 v[100:101], v[153:154], s[18:19], v[165:166]
	v_add_f64 v[100:101], v[100:101], v[159:160]
	v_fma_f64 v[159:160], v[127:128], s[22:23], -v[139:140]
	v_fma_f64 v[139:140], v[127:128], s[22:23], v[139:140]
	v_fma_f64 v[127:128], v[129:130], s[22:23], v[125:126]
	v_fma_f64 v[125:126], v[129:130], s[22:23], -v[125:126]
	v_add_f64 v[120:121], v[159:160], v[120:121]
	v_add_f64 v[104:105], v[139:140], v[104:105]
	v_add_f64 v[110:111], v[127:128], v[110:111]
	v_add_f64 v[116:117], v[125:126], v[116:117]
	v_mul_f64 v[125:126], v[137:138], s[10:11]
	v_fma_f64 v[127:128], v[133:134], s[2:3], -v[125:126]
	v_fma_f64 v[125:126], v[133:134], s[2:3], v[125:126]
	v_add_f64 v[120:121], v[127:128], v[120:121]
	v_mul_f64 v[127:128], v[135:136], s[10:11]
	v_add_f64 v[104:105], v[125:126], v[104:105]
	v_fma_f64 v[125:126], v[143:144], s[2:3], -v[157:158]
	v_fma_f64 v[129:130], v[131:132], s[2:3], v[127:128]
	v_fma_f64 v[127:128], v[131:132], s[2:3], -v[127:128]
	v_fma_f64 v[131:132], v[153:154], s[18:19], -v[165:166]
	v_add_f64 v[125:126], v[125:126], v[106:107]
	v_add_f64 v[110:111], v[129:130], v[110:111]
	v_mul_f64 v[129:130], v[151:152], s[30:31]
	v_add_f64 v[112:113], v[127:128], v[116:117]
	v_fma_f64 v[127:128], v[147:148], s[18:19], v[161:162]
	v_fma_f64 v[135:136], v[141:142], s[20:21], -v[129:130]
	v_fma_f64 v[116:117], v[141:142], s[20:21], v[129:130]
	v_add_f64 v[120:121], v[135:136], v[120:121]
	v_mul_f64 v[135:136], v[145:146], s[30:31]
	v_add_f64 v[116:117], v[116:117], v[104:105]
	v_mul_f64 v[104:105], v[155:156], s[16:17]
	v_fma_f64 v[114:115], v[143:144], s[20:21], -v[135:136]
	v_fma_f64 v[137:138], v[143:144], s[20:21], v[135:136]
	v_fma_f64 v[118:119], v[147:148], s[8:9], v[104:105]
	v_add_f64 v[112:113], v[114:115], v[112:113]
	v_fma_f64 v[114:115], v[147:148], s[8:9], -v[104:105]
	v_mul_f64 v[104:105], v[149:150], s[16:17]
	v_add_f64 v[110:111], v[137:138], v[110:111]
	v_add_f64 v[106:107], v[114:115], v[120:121]
	v_fma_f64 v[108:109], v[153:154], s[8:9], v[104:105]
	v_fma_f64 v[129:130], v[153:154], s[8:9], -v[104:105]
	v_add_f64 v[114:115], v[127:128], v[122:123]
	v_add_f64 v[104:105], v[108:109], v[110:111]
	;; [unrolled: 1-line block ×5, first 2 shown]
	v_mov_b32_e32 v116, 4
	v_lshlrev_b32_sdwa v116, v116, v207 dst_sel:DWORD dst_unused:UNUSED_PAD src0_sel:DWORD src1_sel:WORD_0
	ds_write_b128 v116, v[84:87]
	ds_write_b128 v116, v[92:95] offset:16
	ds_write_b128 v116, v[96:99] offset:32
	;; [unrolled: 1-line block ×10, first 2 shown]
.LBB0_17:
	s_or_b32 exec_lo, exec_lo, s1
	s_waitcnt lgkmcnt(0)
	s_barrier
	buffer_gl0_inv
	ds_read_b128 v[80:83], v205 offset:704
	ds_read_b128 v[84:87], v205 offset:5632
	;; [unrolled: 1-line block ×8, first 2 shown]
	s_mov_b32 s8, 0x8c811c17
	s_mov_b32 s10, 0xa2cf5039
	s_mov_b32 s3, 0x3fe491b7
	s_mov_b32 s2, 0x523c161c
	s_mov_b32 s9, 0x3fef838b
	s_mov_b32 s11, 0x3fe8836f
	s_mov_b32 s16, 0x7e0b738b
	s_mov_b32 s17, 0x3fc63a1a
	s_waitcnt lgkmcnt(7)
	v_mul_f64 v[112:113], v[10:11], v[82:83]
	v_mul_f64 v[10:11], v[10:11], v[80:81]
	s_waitcnt lgkmcnt(6)
	v_mul_f64 v[114:115], v[18:19], v[86:87]
	v_mul_f64 v[18:19], v[18:19], v[84:85]
	;; [unrolled: 3-line block ×6, first 2 shown]
	v_fma_f64 v[80:81], v[8:9], v[80:81], v[112:113]
	v_fma_f64 v[10:11], v[8:9], v[82:83], -v[10:11]
	v_fma_f64 v[82:83], v[16:17], v[84:85], v[114:115]
	v_fma_f64 v[16:17], v[16:17], v[86:87], -v[18:19]
	;; [unrolled: 2-line block ×6, first 2 shown]
	s_waitcnt lgkmcnt(1)
	v_mul_f64 v[22:23], v[6:7], v[106:107]
	v_mul_f64 v[84:85], v[6:7], v[104:105]
	ds_read_b128 v[6:9], v205
	s_waitcnt lgkmcnt(1)
	v_mul_f64 v[86:87], v[2:3], v[110:111]
	v_mul_f64 v[2:3], v[2:3], v[108:109]
	s_waitcnt lgkmcnt(0)
	s_barrier
	buffer_gl0_inv
	v_add_f64 v[88:89], v[80:81], -v[82:83]
	v_add_f64 v[90:91], v[10:11], -v[16:17]
	v_add_f64 v[80:81], v[80:81], v[82:83]
	v_add_f64 v[10:11], v[10:11], v[16:17]
	;; [unrolled: 1-line block ×4, first 2 shown]
	v_add_f64 v[92:93], v[18:19], -v[14:15]
	v_add_f64 v[94:95], v[12:13], -v[28:29]
	v_add_f64 v[96:97], v[30:31], v[26:27]
	v_add_f64 v[98:99], v[24:25], v[20:21]
	v_fma_f64 v[22:23], v[4:5], v[104:105], v[22:23]
	v_fma_f64 v[4:5], v[4:5], v[106:107], -v[84:85]
	v_add_f64 v[20:21], v[24:25], -v[20:21]
	v_fma_f64 v[84:85], v[0:1], v[108:109], v[86:87]
	v_fma_f64 v[0:1], v[0:1], v[110:111], -v[2:3]
	v_add_f64 v[2:3], v[30:31], -v[26:27]
	v_mul_f64 v[24:25], v[88:89], s[2:3]
	v_mul_f64 v[26:27], v[90:91], s[2:3]
	v_fma_f64 v[30:31], v[80:81], s[10:11], v[6:7]
	v_fma_f64 v[86:87], v[10:11], s[10:11], v[8:9]
	s_mov_b32 s3, 0xbfe491b7
	v_fma_f64 v[100:101], v[16:17], s[10:11], v[6:7]
	v_fma_f64 v[102:103], v[82:83], s[10:11], v[8:9]
	v_mul_f64 v[104:105], v[92:93], s[8:9]
	v_mul_f64 v[106:107], v[94:95], s[8:9]
	v_fma_f64 v[108:109], v[96:97], s[10:11], v[6:7]
	v_fma_f64 v[110:111], v[98:99], s[10:11], v[8:9]
	v_mul_f64 v[112:113], v[94:95], s[2:3]
	v_mul_f64 v[114:115], v[92:93], s[2:3]
	v_add_f64 v[116:117], v[22:23], v[84:85]
	v_add_f64 v[118:119], v[4:5], v[0:1]
	;; [unrolled: 1-line block ×4, first 2 shown]
	v_add_f64 v[22:23], v[22:23], -v[84:85]
	v_add_f64 v[0:1], v[4:5], -v[0:1]
	s_mov_b32 s10, 0xe8584cab
	s_mov_b32 s11, 0x3febb67a
	v_fma_f64 v[4:5], v[2:3], s[8:9], v[24:25]
	v_fma_f64 v[24:25], v[20:21], s[8:9], v[26:27]
	;; [unrolled: 1-line block ×6, first 2 shown]
	v_fma_f64 v[100:101], v[2:3], s[2:3], -v[104:105]
	v_fma_f64 v[102:103], v[20:21], s[2:3], -v[106:107]
	v_fma_f64 v[104:105], v[16:17], s[16:17], v[108:109]
	v_fma_f64 v[106:107], v[82:83], s[16:17], v[110:111]
	;; [unrolled: 1-line block ×4, first 2 shown]
	v_add_f64 v[112:113], v[92:93], v[88:89]
	v_add_f64 v[114:115], v[94:95], v[90:91]
	;; [unrolled: 1-line block ×8, first 2 shown]
	s_mov_b32 s3, 0xbfebb67a
	s_mov_b32 s2, s10
	v_fma_f64 v[4:5], v[22:23], s[10:11], v[4:5]
	v_fma_f64 v[24:25], v[0:1], s[10:11], v[24:25]
	v_fma_f64 v[26:27], v[116:117], -0.5, v[26:27]
	v_fma_f64 v[30:31], v[118:119], -0.5, v[30:31]
	;; [unrolled: 1-line block ×4, first 2 shown]
	v_fma_f64 v[100:101], v[22:23], s[10:11], v[100:101]
	v_fma_f64 v[102:103], v[0:1], s[10:11], v[102:103]
	v_fma_f64 v[104:105], v[116:117], -0.5, v[104:105]
	v_fma_f64 v[106:107], v[118:119], -0.5, v[106:107]
	v_fma_f64 v[0:1], v[0:1], s[2:3], v[108:109]
	v_fma_f64 v[22:23], v[22:23], s[2:3], v[110:111]
	s_mov_b32 s8, 0x748a0bf8
	s_mov_b32 s16, 0x42522d1b
	;; [unrolled: 1-line block ×4, first 2 shown]
	v_add_f64 v[18:19], v[18:19], v[120:121]
	v_add_f64 v[12:13], v[12:13], v[122:123]
	v_add_f64 v[108:109], v[112:113], -v[2:3]
	v_add_f64 v[110:111], v[114:115], -v[20:21]
	v_fma_f64 v[112:113], v[129:130], -0.5, v[125:126]
	v_fma_f64 v[114:115], v[131:132], -0.5, v[127:128]
	v_fma_f64 v[92:93], v[92:93], s[8:9], v[4:5]
	v_fma_f64 v[94:95], v[94:95], s[8:9], v[24:25]
	;; [unrolled: 1-line block ×12, first 2 shown]
	v_add_f64 v[90:91], v[14:15], v[18:19]
	v_add_f64 v[28:29], v[28:29], v[12:13]
	v_mul_f64 v[0:1], v[108:109], s[10:11]
	v_mul_f64 v[2:3], v[110:111], s[10:11]
	v_fma_f64 v[10:11], v[110:111], s[2:3], v[112:113]
	v_fma_f64 v[12:13], v[108:109], s[10:11], v[114:115]
	v_add_f64 v[14:15], v[4:5], -v[94:95]
	v_add_f64 v[16:17], v[92:93], v[16:17]
	v_add_f64 v[18:19], v[80:81], -v[82:83]
	v_add_f64 v[20:21], v[30:31], v[84:85]
	;; [unrolled: 2-line block ×3, first 2 shown]
	v_add_f64 v[26:27], v[6:7], v[90:91]
	v_add_f64 v[28:29], v[8:9], v[28:29]
	v_fma_f64 v[4:5], v[2:3], 2.0, v[10:11]
	v_fma_f64 v[6:7], v[0:1], -2.0, v[12:13]
	v_fma_f64 v[0:1], v[94:95], 2.0, v[14:15]
	v_fma_f64 v[2:3], v[92:93], -2.0, v[16:17]
	;; [unrolled: 2-line block ×4, first 2 shown]
	ds_write_b128 v208, v[10:13] offset:528
	ds_write_b128 v208, v[26:29]
	ds_write_b128 v208, v[14:17] offset:176
	ds_write_b128 v208, v[18:21] offset:704
	ds_write_b128 v208, v[4:7] offset:1056
	ds_write_b128 v208, v[22:25] offset:352
	ds_write_b128 v208, v[80:83] offset:880
	ds_write_b128 v208, v[0:3] offset:1408
	ds_write_b128 v208, v[84:87] offset:1232
	s_waitcnt lgkmcnt(0)
	s_barrier
	buffer_gl0_inv
	ds_read_b128 v[4:7], v205
	ds_read_b128 v[8:11], v205 offset:704
	ds_read_b128 v[24:27], v205 offset:1584
	;; [unrolled: 1-line block ×7, first 2 shown]
	s_and_saveexec_b32 s1, s0
	s_cbranch_execz .LBB0_19
; %bb.18:
	ds_read_b128 v[0:3], v205 offset:1408
	ds_read_b128 v[72:75], v205 offset:2992
	;; [unrolled: 1-line block ×4, first 2 shown]
.LBB0_19:
	s_or_b32 exec_lo, exec_lo, s1
	s_waitcnt lgkmcnt(5)
	v_mul_f64 v[84:85], v[54:55], v[26:27]
	v_mul_f64 v[54:55], v[54:55], v[24:25]
	s_waitcnt lgkmcnt(3)
	v_mul_f64 v[86:87], v[50:51], v[30:31]
	v_mul_f64 v[50:51], v[50:51], v[28:29]
	;; [unrolled: 3-line block ×3, first 2 shown]
	v_mul_f64 v[90:91], v[58:59], v[14:15]
	v_mul_f64 v[58:59], v[58:59], v[12:13]
	;; [unrolled: 1-line block ×4, first 2 shown]
	s_waitcnt lgkmcnt(0)
	v_mul_f64 v[94:95], v[62:63], v[22:23]
	v_mul_f64 v[62:63], v[62:63], v[20:21]
	v_fma_f64 v[24:25], v[52:53], v[24:25], v[84:85]
	v_fma_f64 v[26:27], v[52:53], v[26:27], -v[54:55]
	v_fma_f64 v[28:29], v[48:49], v[28:29], v[86:87]
	v_fma_f64 v[30:31], v[48:49], v[30:31], -v[50:51]
	;; [unrolled: 2-line block ×6, first 2 shown]
	v_add_f64 v[28:29], v[4:5], -v[28:29]
	v_add_f64 v[30:31], v[6:7], -v[30:31]
	v_add_f64 v[46:47], v[24:25], -v[48:49]
	v_add_f64 v[44:45], v[26:27], -v[44:45]
	v_add_f64 v[48:49], v[8:9], -v[16:17]
	v_add_f64 v[50:51], v[10:11], -v[18:19]
	v_add_f64 v[16:17], v[12:13], -v[20:21]
	v_add_f64 v[18:19], v[14:15], -v[22:23]
	v_fma_f64 v[52:53], v[4:5], 2.0, -v[28:29]
	v_fma_f64 v[54:55], v[6:7], 2.0, -v[30:31]
	;; [unrolled: 1-line block ×4, first 2 shown]
	v_add_f64 v[4:5], v[28:29], v[44:45]
	v_add_f64 v[6:7], v[30:31], -v[46:47]
	v_fma_f64 v[56:57], v[8:9], 2.0, -v[48:49]
	v_fma_f64 v[58:59], v[10:11], 2.0, -v[50:51]
	;; [unrolled: 1-line block ×4, first 2 shown]
	v_add_f64 v[8:9], v[48:49], v[18:19]
	v_add_f64 v[10:11], v[50:51], -v[16:17]
	v_add_f64 v[12:13], v[52:53], -v[20:21]
	;; [unrolled: 1-line block ×3, first 2 shown]
	v_fma_f64 v[20:21], v[28:29], 2.0, -v[4:5]
	v_fma_f64 v[22:23], v[30:31], 2.0, -v[6:7]
	v_add_f64 v[16:17], v[56:57], -v[24:25]
	v_add_f64 v[18:19], v[58:59], -v[26:27]
	v_fma_f64 v[24:25], v[48:49], 2.0, -v[8:9]
	v_fma_f64 v[26:27], v[50:51], 2.0, -v[10:11]
	;; [unrolled: 1-line block ×6, first 2 shown]
	ds_write_b128 v205, v[4:7] offset:4752
	ds_write_b128 v205, v[20:23] offset:1584
	;; [unrolled: 1-line block ×5, first 2 shown]
	ds_write_b128 v205, v[28:31]
	ds_write_b128 v205, v[44:47] offset:704
	ds_write_b128 v205, v[8:11] offset:5456
	s_and_saveexec_b32 s1, s0
	s_cbranch_execz .LBB0_21
; %bb.20:
	v_mul_f64 v[4:5], v[38:39], v[76:77]
	v_mul_f64 v[6:7], v[42:43], v[74:75]
	;; [unrolled: 1-line block ×6, first 2 shown]
	v_fma_f64 v[4:5], v[36:37], v[78:79], -v[4:5]
	v_fma_f64 v[6:7], v[40:41], v[72:73], v[6:7]
	v_fma_f64 v[8:9], v[40:41], v[74:75], -v[8:9]
	v_fma_f64 v[10:11], v[32:33], v[70:71], -v[10:11]
	v_fma_f64 v[12:13], v[36:37], v[76:77], v[12:13]
	v_fma_f64 v[14:15], v[32:33], v[68:69], v[14:15]
	v_add_f64 v[16:17], v[2:3], -v[4:5]
	v_add_f64 v[4:5], v[8:9], -v[10:11]
	v_add_f64 v[12:13], v[0:1], -v[12:13]
	v_add_f64 v[10:11], v[6:7], -v[14:15]
	v_fma_f64 v[14:15], v[2:3], 2.0, -v[16:17]
	v_fma_f64 v[8:9], v[8:9], 2.0, -v[4:5]
	;; [unrolled: 1-line block ×4, first 2 shown]
	v_add_f64 v[2:3], v[16:17], -v[10:11]
	v_add_f64 v[0:1], v[12:13], v[4:5]
	v_add_f64 v[6:7], v[14:15], -v[8:9]
	v_add_f64 v[4:5], v[18:19], -v[20:21]
	v_fma_f64 v[10:11], v[16:17], 2.0, -v[2:3]
	v_fma_f64 v[8:9], v[12:13], 2.0, -v[0:1]
	;; [unrolled: 1-line block ×4, first 2 shown]
	ds_write_b128 v205, v[8:11] offset:2992
	ds_write_b128 v205, v[4:7] offset:4576
	;; [unrolled: 1-line block ×4, first 2 shown]
.LBB0_21:
	s_or_b32 exec_lo, exec_lo, s1
	s_waitcnt lgkmcnt(0)
	s_barrier
	buffer_gl0_inv
	s_and_b32 exec_lo, exec_lo, vcc_lo
	s_cbranch_execz .LBB0_23
; %bb.22:
	v_add_co_u32 v24, s0, s14, v205
	v_add_co_ci_u32_e64 v25, null, s15, 0, s0
	global_load_dwordx4 v[0:3], v205, s[14:15]
	v_add_co_u32 v28, vcc_lo, 0x800, v24
	v_add_co_ci_u32_e32 v29, vcc_lo, 0, v25, vcc_lo
	s_clause 0x4
	global_load_dwordx4 v[4:7], v205, s[14:15] offset:576
	global_load_dwordx4 v[8:11], v205, s[14:15] offset:1152
	;; [unrolled: 1-line block ×3, first 2 shown]
	global_load_dwordx4 v[16:19], v[28:29], off offset:256
	global_load_dwordx4 v[20:23], v[28:29], off offset:832
	v_add_co_u32 v40, vcc_lo, 0x1000, v24
	v_add_co_ci_u32_e32 v41, vcc_lo, 0, v25, vcc_lo
	s_clause 0x4
	global_load_dwordx4 v[24:27], v[28:29], off offset:1408
	global_load_dwordx4 v[28:31], v[28:29], off offset:1984
	;; [unrolled: 1-line block ×5, first 2 shown]
	v_mad_u64_u32 v[44:45], null, s6, v124, 0
	v_mad_u64_u32 v[46:47], null, s4, v206, 0
	s_mul_i32 s2, s5, 0x240
	s_mul_hi_u32 s3, s4, 0x240
	s_mulk_i32 s4, 0x240
	s_add_i32 s3, s3, s2
	s_mov_b32 s0, 0xa052bf5b
	s_mov_b32 s1, 0x3f64afd6
	v_mad_u64_u32 v[48:49], null, s7, v124, v[45:46]
	v_mad_u64_u32 v[49:50], null, s5, v206, v[47:48]
	v_mov_b32_e32 v45, v48
	v_lshlrev_b64 v[44:45], 4, v[44:45]
	v_mov_b32_e32 v47, v49
	v_lshlrev_b64 v[46:47], 4, v[46:47]
	v_add_co_u32 v44, vcc_lo, s12, v44
	v_add_co_ci_u32_e32 v45, vcc_lo, s13, v45, vcc_lo
	v_add_co_u32 v88, vcc_lo, v44, v46
	v_add_co_ci_u32_e32 v89, vcc_lo, v45, v47, vcc_lo
	ds_read_b128 v[44:47], v205
	ds_read_b128 v[48:51], v205 offset:576
	ds_read_b128 v[52:55], v205 offset:1152
	;; [unrolled: 1-line block ×10, first 2 shown]
	v_add_co_u32 v90, vcc_lo, v88, s4
	v_add_co_ci_u32_e32 v91, vcc_lo, s3, v89, vcc_lo
	v_add_co_u32 v92, vcc_lo, v90, s4
	v_add_co_ci_u32_e32 v93, vcc_lo, s3, v91, vcc_lo
	;; [unrolled: 2-line block ×7, first 2 shown]
	s_waitcnt vmcnt(10) lgkmcnt(10)
	v_mul_f64 v[104:105], v[46:47], v[2:3]
	v_mul_f64 v[2:3], v[44:45], v[2:3]
	s_waitcnt vmcnt(9) lgkmcnt(9)
	v_mul_f64 v[106:107], v[50:51], v[6:7]
	v_mul_f64 v[6:7], v[48:49], v[6:7]
	;; [unrolled: 3-line block ×11, first 2 shown]
	v_fma_f64 v[44:45], v[44:45], v[0:1], v[104:105]
	v_fma_f64 v[2:3], v[0:1], v[46:47], -v[2:3]
	v_fma_f64 v[46:47], v[48:49], v[4:5], v[106:107]
	v_fma_f64 v[6:7], v[4:5], v[50:51], -v[6:7]
	;; [unrolled: 2-line block ×11, first 2 shown]
	v_mul_f64 v[0:1], v[44:45], s[0:1]
	v_mul_f64 v[2:3], v[2:3], s[0:1]
	;; [unrolled: 1-line block ×22, first 2 shown]
	v_add_co_u32 v44, vcc_lo, v102, s4
	v_add_co_ci_u32_e32 v45, vcc_lo, s3, v103, vcc_lo
	v_add_co_u32 v46, vcc_lo, v44, s4
	v_add_co_ci_u32_e32 v47, vcc_lo, s3, v45, vcc_lo
	;; [unrolled: 2-line block ×3, first 2 shown]
	global_store_dwordx4 v[88:89], v[0:3], off
	global_store_dwordx4 v[90:91], v[4:7], off
	;; [unrolled: 1-line block ×11, first 2 shown]
.LBB0_23:
	s_endpgm
	.section	.rodata,"a",@progbits
	.p2align	6, 0x0
	.amdhsa_kernel bluestein_single_back_len396_dim1_dp_op_CI_CI
		.amdhsa_group_segment_fixed_size 6336
		.amdhsa_private_segment_fixed_size 0
		.amdhsa_kernarg_size 104
		.amdhsa_user_sgpr_count 6
		.amdhsa_user_sgpr_private_segment_buffer 1
		.amdhsa_user_sgpr_dispatch_ptr 0
		.amdhsa_user_sgpr_queue_ptr 0
		.amdhsa_user_sgpr_kernarg_segment_ptr 1
		.amdhsa_user_sgpr_dispatch_id 0
		.amdhsa_user_sgpr_flat_scratch_init 0
		.amdhsa_user_sgpr_private_segment_size 0
		.amdhsa_wavefront_size32 1
		.amdhsa_uses_dynamic_stack 0
		.amdhsa_system_sgpr_private_segment_wavefront_offset 0
		.amdhsa_system_sgpr_workgroup_id_x 1
		.amdhsa_system_sgpr_workgroup_id_y 0
		.amdhsa_system_sgpr_workgroup_id_z 0
		.amdhsa_system_sgpr_workgroup_info 0
		.amdhsa_system_vgpr_workitem_id 0
		.amdhsa_next_free_vgpr 233
		.amdhsa_next_free_sgpr 40
		.amdhsa_reserve_vcc 1
		.amdhsa_reserve_flat_scratch 0
		.amdhsa_float_round_mode_32 0
		.amdhsa_float_round_mode_16_64 0
		.amdhsa_float_denorm_mode_32 3
		.amdhsa_float_denorm_mode_16_64 3
		.amdhsa_dx10_clamp 1
		.amdhsa_ieee_mode 1
		.amdhsa_fp16_overflow 0
		.amdhsa_workgroup_processor_mode 1
		.amdhsa_memory_ordered 1
		.amdhsa_forward_progress 0
		.amdhsa_shared_vgpr_count 0
		.amdhsa_exception_fp_ieee_invalid_op 0
		.amdhsa_exception_fp_denorm_src 0
		.amdhsa_exception_fp_ieee_div_zero 0
		.amdhsa_exception_fp_ieee_overflow 0
		.amdhsa_exception_fp_ieee_underflow 0
		.amdhsa_exception_fp_ieee_inexact 0
		.amdhsa_exception_int_div_zero 0
	.end_amdhsa_kernel
	.text
.Lfunc_end0:
	.size	bluestein_single_back_len396_dim1_dp_op_CI_CI, .Lfunc_end0-bluestein_single_back_len396_dim1_dp_op_CI_CI
                                        ; -- End function
	.section	.AMDGPU.csdata,"",@progbits
; Kernel info:
; codeLenInByte = 14064
; NumSgprs: 42
; NumVgprs: 233
; ScratchSize: 0
; MemoryBound: 0
; FloatMode: 240
; IeeeMode: 1
; LDSByteSize: 6336 bytes/workgroup (compile time only)
; SGPRBlocks: 5
; VGPRBlocks: 29
; NumSGPRsForWavesPerEU: 42
; NumVGPRsForWavesPerEU: 233
; Occupancy: 4
; WaveLimiterHint : 1
; COMPUTE_PGM_RSRC2:SCRATCH_EN: 0
; COMPUTE_PGM_RSRC2:USER_SGPR: 6
; COMPUTE_PGM_RSRC2:TRAP_HANDLER: 0
; COMPUTE_PGM_RSRC2:TGID_X_EN: 1
; COMPUTE_PGM_RSRC2:TGID_Y_EN: 0
; COMPUTE_PGM_RSRC2:TGID_Z_EN: 0
; COMPUTE_PGM_RSRC2:TIDIG_COMP_CNT: 0
	.text
	.p2alignl 6, 3214868480
	.fill 48, 4, 3214868480
	.type	__hip_cuid_62fd9efee9a7df82,@object ; @__hip_cuid_62fd9efee9a7df82
	.section	.bss,"aw",@nobits
	.globl	__hip_cuid_62fd9efee9a7df82
__hip_cuid_62fd9efee9a7df82:
	.byte	0                               ; 0x0
	.size	__hip_cuid_62fd9efee9a7df82, 1

	.ident	"AMD clang version 19.0.0git (https://github.com/RadeonOpenCompute/llvm-project roc-6.4.0 25133 c7fe45cf4b819c5991fe208aaa96edf142730f1d)"
	.section	".note.GNU-stack","",@progbits
	.addrsig
	.addrsig_sym __hip_cuid_62fd9efee9a7df82
	.amdgpu_metadata
---
amdhsa.kernels:
  - .args:
      - .actual_access:  read_only
        .address_space:  global
        .offset:         0
        .size:           8
        .value_kind:     global_buffer
      - .actual_access:  read_only
        .address_space:  global
        .offset:         8
        .size:           8
        .value_kind:     global_buffer
      - .actual_access:  read_only
        .address_space:  global
        .offset:         16
        .size:           8
        .value_kind:     global_buffer
      - .actual_access:  read_only
        .address_space:  global
        .offset:         24
        .size:           8
        .value_kind:     global_buffer
      - .actual_access:  read_only
        .address_space:  global
        .offset:         32
        .size:           8
        .value_kind:     global_buffer
      - .offset:         40
        .size:           8
        .value_kind:     by_value
      - .address_space:  global
        .offset:         48
        .size:           8
        .value_kind:     global_buffer
      - .address_space:  global
        .offset:         56
        .size:           8
        .value_kind:     global_buffer
      - .address_space:  global
        .offset:         64
        .size:           8
        .value_kind:     global_buffer
      - .address_space:  global
        .offset:         72
        .size:           8
        .value_kind:     global_buffer
      - .offset:         80
        .size:           4
        .value_kind:     by_value
      - .address_space:  global
        .offset:         88
        .size:           8
        .value_kind:     global_buffer
      - .address_space:  global
        .offset:         96
        .size:           8
        .value_kind:     global_buffer
    .group_segment_fixed_size: 6336
    .kernarg_segment_align: 8
    .kernarg_segment_size: 104
    .language:       OpenCL C
    .language_version:
      - 2
      - 0
    .max_flat_workgroup_size: 44
    .name:           bluestein_single_back_len396_dim1_dp_op_CI_CI
    .private_segment_fixed_size: 0
    .sgpr_count:     42
    .sgpr_spill_count: 0
    .symbol:         bluestein_single_back_len396_dim1_dp_op_CI_CI.kd
    .uniform_work_group_size: 1
    .uses_dynamic_stack: false
    .vgpr_count:     233
    .vgpr_spill_count: 0
    .wavefront_size: 32
    .workgroup_processor_mode: 1
amdhsa.target:   amdgcn-amd-amdhsa--gfx1030
amdhsa.version:
  - 1
  - 2
...

	.end_amdgpu_metadata
